;; amdgpu-corpus repo=ROCm/rocFFT kind=compiled arch=gfx1201 opt=O3
	.text
	.amdgcn_target "amdgcn-amd-amdhsa--gfx1201"
	.amdhsa_code_object_version 6
	.protected	bluestein_single_fwd_len750_dim1_sp_op_CI_CI ; -- Begin function bluestein_single_fwd_len750_dim1_sp_op_CI_CI
	.globl	bluestein_single_fwd_len750_dim1_sp_op_CI_CI
	.p2align	8
	.type	bluestein_single_fwd_len750_dim1_sp_op_CI_CI,@function
bluestein_single_fwd_len750_dim1_sp_op_CI_CI: ; @bluestein_single_fwd_len750_dim1_sp_op_CI_CI
; %bb.0:
	s_load_b128 s[4:7], s[0:1], 0x28
	v_mul_u32_u24_e32 v1, 0x107, v0
	s_mov_b32 s2, exec_lo
	v_mov_b32_e32 v43, 0
	s_delay_alu instid0(VALU_DEP_2) | instskip(NEXT) | instid1(VALU_DEP_1)
	v_lshrrev_b32_e32 v1, 16, v1
	v_add_nc_u32_e32 v42, ttmp9, v1
	s_wait_kmcnt 0x0
	s_delay_alu instid0(VALU_DEP_1)
	v_cmpx_gt_u64_e64 s[4:5], v[42:43]
	s_cbranch_execz .LBB0_31
; %bb.1:
	s_clause 0x1
	s_load_b64 s[10:11], s[0:1], 0x0
	s_load_b64 s[8:9], s[0:1], 0x38
	v_mul_lo_u16 v1, 0xfa, v1
	s_delay_alu instid0(VALU_DEP_1) | instskip(NEXT) | instid1(VALU_DEP_1)
	v_sub_nc_u16 v0, v0, v1
	v_and_b32_e32 v43, 0xffff, v0
	v_cmp_gt_u16_e32 vcc_lo, 0x4b, v0
	s_delay_alu instid0(VALU_DEP_2)
	v_lshlrev_b32_e32 v44, 3, v43
	s_and_saveexec_b32 s3, vcc_lo
	s_cbranch_execz .LBB0_3
; %bb.2:
	s_load_b64 s[4:5], s[0:1], 0x18
	s_delay_alu instid0(VALU_DEP_1)
	v_add_nc_u32_e32 v46, 0xc00, v44
	s_wait_kmcnt 0x0
	s_load_b128 s[12:15], s[4:5], 0x0
	s_wait_kmcnt 0x0
	v_mad_co_u64_u32 v[0:1], null, s14, v42, 0
	v_mad_co_u64_u32 v[2:3], null, s12, v43, 0
	s_mul_u64 s[4:5], s[12:13], 0x258
	s_delay_alu instid0(VALU_DEP_1) | instskip(NEXT) | instid1(VALU_DEP_1)
	v_mad_co_u64_u32 v[4:5], null, s15, v42, v[1:2]
	v_mad_co_u64_u32 v[5:6], null, s13, v43, v[3:4]
	v_mov_b32_e32 v1, v4
	s_delay_alu instid0(VALU_DEP_1) | instskip(NEXT) | instid1(VALU_DEP_3)
	v_lshlrev_b64_e32 v[0:1], 3, v[0:1]
	v_mov_b32_e32 v3, v5
	s_clause 0x7
	global_load_b64 v[4:5], v44, s[10:11]
	global_load_b64 v[6:7], v44, s[10:11] offset:600
	global_load_b64 v[8:9], v44, s[10:11] offset:1200
	;; [unrolled: 1-line block ×7, first 2 shown]
	v_lshlrev_b64_e32 v[2:3], 3, v[2:3]
	v_add_co_u32 v0, s2, s6, v0
	s_delay_alu instid0(VALU_DEP_1) | instskip(NEXT) | instid1(VALU_DEP_2)
	v_add_co_ci_u32_e64 v1, s2, s7, v1, s2
	v_add_co_u32 v0, s2, v0, v2
	s_wait_alu 0xf1ff
	s_delay_alu instid0(VALU_DEP_2) | instskip(SKIP_1) | instid1(VALU_DEP_2)
	v_add_co_ci_u32_e64 v1, s2, v1, v3, s2
	s_wait_alu 0xfffe
	v_add_co_u32 v2, s2, v0, s4
	s_wait_alu 0xf1ff
	s_delay_alu instid0(VALU_DEP_2)
	v_add_co_ci_u32_e64 v3, s2, s5, v1, s2
	global_load_b64 v[0:1], v[0:1], off
	v_add_co_u32 v12, s2, v2, s4
	s_wait_alu 0xf1ff
	v_add_co_ci_u32_e64 v13, s2, s5, v3, s2
	v_add_nc_u32_e32 v45, 0x800, v44
	s_delay_alu instid0(VALU_DEP_3) | instskip(SKIP_1) | instid1(VALU_DEP_3)
	v_add_co_u32 v22, s2, v12, s4
	s_wait_alu 0xf1ff
	v_add_co_ci_u32_e64 v23, s2, s5, v13, s2
	s_delay_alu instid0(VALU_DEP_2) | instskip(SKIP_1) | instid1(VALU_DEP_2)
	v_add_co_u32 v24, s2, v22, s4
	s_wait_alu 0xf1ff
	v_add_co_ci_u32_e64 v25, s2, s5, v23, s2
	s_clause 0x2
	global_load_b64 v[2:3], v[2:3], off
	global_load_b64 v[12:13], v[12:13], off
	;; [unrolled: 1-line block ×3, first 2 shown]
	v_add_co_u32 v26, s2, v24, s4
	s_wait_alu 0xf1ff
	v_add_co_ci_u32_e64 v27, s2, s5, v25, s2
	global_load_b64 v[24:25], v[24:25], off
	v_add_co_u32 v28, s2, v26, s4
	s_wait_alu 0xf1ff
	v_add_co_ci_u32_e64 v29, s2, s5, v27, s2
	global_load_b64 v[26:27], v[26:27], off
	;; [unrolled: 4-line block ×5, first 2 shown]
	s_clause 0x1
	global_load_b64 v[36:37], v44, s[10:11] offset:4800
	global_load_b64 v[38:39], v44, s[10:11] offset:5400
	global_load_b64 v[34:35], v[34:35], off
	s_wait_loadcnt 0xb
	v_mul_f32_e32 v40, v1, v5
	v_mul_f32_e32 v41, v0, v5
	s_wait_loadcnt 0xa
	s_delay_alu instid0(VALU_DEP_2) | instskip(SKIP_3) | instid1(VALU_DEP_2)
	v_dual_fmac_f32 v40, v0, v4 :: v_dual_mul_f32 v5, v3, v7
	s_wait_loadcnt 0x9
	v_dual_mul_f32 v0, v13, v9 :: v_dual_mul_f32 v7, v2, v7
	s_wait_loadcnt 0x8
	v_dual_fmac_f32 v5, v2, v6 :: v_dual_mul_f32 v2, v23, v11
	v_fma_f32 v41, v1, v4, -v41
	s_wait_loadcnt 0x7
	v_mul_f32_e32 v4, v24, v15
	v_mul_f32_e32 v1, v12, v9
	v_fmac_f32_e32 v0, v12, v8
	v_fmac_f32_e32 v2, v22, v10
	v_fma_f32 v6, v3, v6, -v7
	v_mul_f32_e32 v3, v22, v11
	v_mul_f32_e32 v7, v25, v15
	v_fma_f32 v1, v13, v8, -v1
	v_fma_f32 v8, v25, v14, -v4
	s_wait_loadcnt 0x6
	v_mul_f32_e32 v4, v26, v17
	v_fma_f32 v3, v23, v10, -v3
	v_fmac_f32_e32 v7, v24, v14
	s_wait_loadcnt 0x5
	v_dual_mul_f32 v9, v27, v17 :: v_dual_mul_f32 v12, v28, v19
	v_mul_f32_e32 v11, v29, v19
	v_fma_f32 v10, v27, v16, -v4
	s_wait_loadcnt 0x4
	v_mul_f32_e32 v4, v30, v21
	v_mul_f32_e32 v13, v31, v21
	v_fmac_f32_e32 v9, v26, v16
	v_fma_f32 v12, v29, v18, -v12
	s_wait_loadcnt 0x2
	v_mul_f32_e32 v15, v33, v37
	s_wait_loadcnt 0x0
	v_dual_mul_f32 v16, v32, v37 :: v_dual_mul_f32 v17, v35, v39
	v_fma_f32 v14, v31, v20, -v4
	v_dual_fmac_f32 v11, v28, v18 :: v_dual_add_nc_u32 v4, 0x1000, v44
	v_mul_f32_e32 v18, v34, v39
	v_fmac_f32_e32 v13, v30, v20
	v_fmac_f32_e32 v15, v32, v36
	v_fma_f32 v16, v33, v36, -v16
	v_fmac_f32_e32 v17, v34, v38
	v_fma_f32 v18, v35, v38, -v18
	ds_store_2addr_b64 v44, v[40:41], v[5:6] offset1:75
	ds_store_2addr_b64 v44, v[0:1], v[2:3] offset0:150 offset1:225
	ds_store_2addr_b64 v45, v[7:8], v[9:10] offset0:44 offset1:119
	;; [unrolled: 1-line block ×4, first 2 shown]
.LBB0_3:
	s_or_b32 exec_lo, exec_lo, s3
	global_wb scope:SCOPE_SE
	s_wait_dscnt 0x0
	s_wait_kmcnt 0x0
	s_barrier_signal -1
	s_barrier_wait -1
	global_inv scope:SCOPE_SE
                                        ; implicit-def: $vgpr0
                                        ; implicit-def: $vgpr12
                                        ; implicit-def: $vgpr16
                                        ; implicit-def: $vgpr8
                                        ; implicit-def: $vgpr4
	s_and_saveexec_b32 s2, vcc_lo
	s_cbranch_execz .LBB0_5
; %bb.4:
	v_add_nc_u32_e32 v4, 0x800, v44
	v_add_nc_u32_e32 v5, 0xc00, v44
	v_add_nc_u32_e32 v6, 0x1000, v44
	ds_load_2addr_b64 v[0:3], v44 offset1:75
	ds_load_2addr_b64 v[12:15], v44 offset0:150 offset1:225
	ds_load_2addr_b64 v[16:19], v4 offset0:44 offset1:119
	;; [unrolled: 1-line block ×4, first 2 shown]
.LBB0_5:
	s_wait_alu 0xfffe
	s_or_b32 exec_lo, exec_lo, s2
	s_wait_dscnt 0x1
	v_dual_add_f32 v20, v16, v8 :: v_dual_sub_f32 v23, v17, v9
	s_wait_dscnt 0x0
	v_dual_add_f32 v21, v0, v12 :: v_dual_sub_f32 v22, v13, v5
	s_load_b64 s[2:3], s[0:1], 0x8
	s_delay_alu instid0(VALU_DEP_2)
	v_fma_f32 v27, -0.5, v20, v0
	v_add_f32_e32 v25, v12, v4
	v_sub_f32_e32 v20, v12, v16
	v_mul_lo_u16 v47, v43, 10
	global_wb scope:SCOPE_SE
	v_fmamk_f32 v28, v22, 0x3f737871, v27
	v_fmac_f32_e32 v27, 0xbf737871, v22
	v_dual_add_f32 v21, v21, v16 :: v_dual_fmac_f32 v0, -0.5, v25
	v_sub_f32_e32 v24, v4, v8
	s_delay_alu instid0(VALU_DEP_3) | instskip(NEXT) | instid1(VALU_DEP_3)
	v_dual_sub_f32 v26, v16, v12 :: v_dual_fmac_f32 v27, 0xbf167918, v23
	v_dual_add_f32 v21, v21, v8 :: v_dual_fmac_f32 v28, 0x3f167918, v23
	s_delay_alu instid0(VALU_DEP_3) | instskip(SKIP_2) | instid1(VALU_DEP_4)
	v_dual_fmamk_f32 v29, v23, 0xbf737871, v0 :: v_dual_add_f32 v20, v20, v24
	v_dual_add_f32 v25, v1, v13 :: v_dual_sub_f32 v24, v8, v4
	v_add_f32_e32 v30, v17, v9
	v_dual_add_f32 v21, v21, v4 :: v_dual_fmac_f32 v0, 0x3f737871, v23
	s_delay_alu instid0(VALU_DEP_3)
	v_dual_fmac_f32 v28, 0x3e9e377a, v20 :: v_dual_add_f32 v23, v25, v17
	v_dual_fmac_f32 v29, 0x3f167918, v22 :: v_dual_sub_f32 v4, v12, v4
	v_fmac_f32_e32 v27, 0x3e9e377a, v20
	v_fma_f32 v32, -0.5, v30, v1
	v_add_f32_e32 v20, v13, v5
	v_sub_f32_e32 v8, v16, v8
	v_sub_f32_e32 v16, v13, v17
	v_dual_sub_f32 v13, v17, v13 :: v_dual_add_f32 v24, v26, v24
	v_fmac_f32_e32 v0, 0xbf167918, v22
	v_dual_add_f32 v12, v23, v9 :: v_dual_fmamk_f32 v23, v4, 0xbf737871, v32
	s_delay_alu instid0(VALU_DEP_3)
	v_dual_sub_f32 v22, v5, v9 :: v_dual_fmac_f32 v29, 0x3e9e377a, v24
	v_fmac_f32_e32 v32, 0x3f737871, v4
	s_wait_kmcnt 0x0
	s_barrier_signal -1
	v_fmac_f32_e32 v23, 0xbf167918, v8
	v_add_f32_e32 v31, v12, v5
	v_sub_f32_e32 v5, v9, v5
	v_add_f32_e32 v9, v2, v14
	v_add_f32_e32 v12, v16, v22
	v_dual_fmac_f32 v32, 0x3f167918, v8 :: v_dual_sub_f32 v17, v6, v10
	s_delay_alu instid0(VALU_DEP_4) | instskip(NEXT) | instid1(VALU_DEP_3)
	v_dual_add_f32 v5, v13, v5 :: v_dual_sub_f32 v22, v18, v14
	v_fmac_f32_e32 v23, 0x3e9e377a, v12
	v_fmac_f32_e32 v1, -0.5, v20
	v_fmac_f32_e32 v0, 0x3e9e377a, v24
	v_sub_f32_e32 v24, v10, v6
	s_barrier_wait -1
	global_inv scope:SCOPE_SE
	v_fmamk_f32 v16, v8, 0x3f737871, v1
	v_dual_fmac_f32 v1, 0xbf737871, v8 :: v_dual_add_f32 v8, v9, v18
	s_delay_alu instid0(VALU_DEP_2) | instskip(NEXT) | instid1(VALU_DEP_2)
	v_dual_add_f32 v9, v18, v10 :: v_dual_fmac_f32 v16, 0xbf167918, v4
	v_dual_fmac_f32 v1, 0x3f167918, v4 :: v_dual_add_f32 v4, v8, v10
	s_delay_alu instid0(VALU_DEP_2) | instskip(SKIP_1) | instid1(VALU_DEP_4)
	v_fma_f32 v9, -0.5, v9, v2
	v_sub_f32_e32 v10, v18, v10
	v_fmac_f32_e32 v16, 0x3e9e377a, v5
	s_delay_alu instid0(VALU_DEP_4) | instskip(SKIP_2) | instid1(VALU_DEP_1)
	v_fmac_f32_e32 v1, 0x3e9e377a, v5
	v_dual_sub_f32 v5, v19, v11 :: v_dual_fmac_f32 v32, 0x3e9e377a, v12
	v_sub_f32_e32 v12, v15, v7
	v_dual_add_f32 v8, v14, v6 :: v_dual_fmamk_f32 v13, v12, 0x3f737871, v9
	s_delay_alu instid0(VALU_DEP_1) | instskip(SKIP_1) | instid1(VALU_DEP_3)
	v_dual_fmac_f32 v13, 0x3f167918, v5 :: v_dual_add_f32 v4, v4, v6
	v_fmac_f32_e32 v9, 0xbf737871, v12
	v_fmac_f32_e32 v2, -0.5, v8
	v_sub_f32_e32 v8, v14, v18
	v_sub_f32_e32 v6, v14, v6
	s_delay_alu instid0(VALU_DEP_4) | instskip(NEXT) | instid1(VALU_DEP_3)
	v_dual_sub_f32 v26, v21, v4 :: v_dual_fmac_f32 v9, 0xbf167918, v5
	v_add_f32_e32 v8, v8, v17
	s_delay_alu instid0(VALU_DEP_1) | instskip(NEXT) | instid1(VALU_DEP_3)
	v_fmac_f32_e32 v13, 0x3e9e377a, v8
	v_dual_fmac_f32 v9, 0x3e9e377a, v8 :: v_dual_add_f32 v8, v15, v7
	v_fmamk_f32 v20, v5, 0xbf737871, v2
	v_dual_fmac_f32 v2, 0x3f737871, v5 :: v_dual_add_f32 v5, v19, v11
	v_dual_add_f32 v17, v22, v24 :: v_dual_sub_f32 v14, v19, v15
	s_delay_alu instid0(VALU_DEP_3) | instskip(NEXT) | instid1(VALU_DEP_3)
	v_fmac_f32_e32 v20, 0x3f167918, v12
	v_fmac_f32_e32 v2, 0xbf167918, v12
	v_add_f32_e32 v12, v3, v15
	v_fma_f32 v5, -0.5, v5, v3
	v_dual_fmac_f32 v3, -0.5, v8 :: v_dual_mul_f32 v34, 0xbf167918, v13
	s_delay_alu instid0(VALU_DEP_1) | instskip(SKIP_1) | instid1(VALU_DEP_1)
	v_fmamk_f32 v18, v10, 0x3f737871, v3
	v_fmac_f32_e32 v3, 0xbf737871, v10
	v_dual_fmac_f32 v3, 0x3f167918, v6 :: v_dual_add_f32 v8, v12, v19
	v_sub_f32_e32 v12, v15, v19
	v_sub_f32_e32 v15, v11, v7
	;; [unrolled: 1-line block ×3, first 2 shown]
	s_delay_alu instid0(VALU_DEP_1) | instskip(SKIP_1) | instid1(VALU_DEP_4)
	v_add_f32_e32 v12, v12, v19
	v_fmac_f32_e32 v20, 0x3e9e377a, v17
	v_add_f32_e32 v14, v14, v15
	v_fmac_f32_e32 v2, 0x3e9e377a, v17
	v_mul_f32_e32 v19, 0x3f4f1bbd, v13
	v_fmamk_f32 v17, v6, 0xbf737871, v5
	v_fmac_f32_e32 v5, 0x3f737871, v6
	v_fmac_f32_e32 v18, 0xbf167918, v6
	s_delay_alu instid0(VALU_DEP_2) | instskip(SKIP_1) | instid1(VALU_DEP_2)
	v_dual_fmac_f32 v5, 0x3f167918, v10 :: v_dual_add_f32 v6, v8, v11
	v_mul_f32_e32 v11, 0x3f4f1bbd, v9
	v_fmac_f32_e32 v5, 0x3e9e377a, v12
	v_fmac_f32_e32 v17, 0xbf167918, v10
	s_delay_alu instid0(VALU_DEP_2) | instskip(SKIP_1) | instid1(VALU_DEP_3)
	v_fma_f32 v33, 0x3f167918, v5, -v11
	v_mul_f32_e32 v5, 0x3f4f1bbd, v5
	v_fmac_f32_e32 v17, 0x3e9e377a, v12
	v_mul_f32_e32 v35, 0xbf737871, v20
	v_fmac_f32_e32 v3, 0x3e9e377a, v14
	v_fmac_f32_e32 v18, 0x3e9e377a, v14
	v_add_f32_e32 v24, v27, v33
	v_fmac_f32_e32 v34, 0x3f4f1bbd, v17
	v_fmac_f32_e32 v19, 0x3f167918, v17
	s_delay_alu instid0(VALU_DEP_4) | instskip(SKIP_1) | instid1(VALU_DEP_4)
	v_fmac_f32_e32 v35, 0x3e9e377a, v18
	v_mul_f32_e32 v8, 0x3e9e377a, v2
	v_dual_add_f32 v6, v6, v7 :: v_dual_add_f32 v11, v23, v34
	s_delay_alu instid0(VALU_DEP_4) | instskip(NEXT) | instid1(VALU_DEP_4)
	v_add_f32_e32 v10, v28, v19
	v_add_f32_e32 v13, v16, v35
	s_delay_alu instid0(VALU_DEP_4) | instskip(SKIP_2) | instid1(VALU_DEP_2)
	v_fma_f32 v7, 0x3f737871, v3, -v8
	v_dual_mul_f32 v3, 0x3e9e377a, v3 :: v_dual_add_f32 v8, v21, v4
	v_sub_f32_e32 v28, v28, v19
	v_fma_f32 v2, 0xbf737871, v2, -v3
	v_fma_f32 v3, 0xbf167918, v9, -v5
	v_mul_f32_e32 v22, 0x3f737871, v18
	v_dual_add_f32 v14, v0, v7 :: v_dual_add_f32 v9, v31, v6
	s_delay_alu instid0(VALU_DEP_4) | instskip(NEXT) | instid1(VALU_DEP_3)
	v_sub_f32_e32 v21, v1, v2
	v_dual_add_f32 v25, v32, v3 :: v_dual_fmac_f32 v22, 0x3e9e377a, v20
	v_dual_add_f32 v15, v1, v2 :: v_dual_sub_f32 v20, v0, v7
	s_delay_alu instid0(VALU_DEP_2)
	v_add_f32_e32 v12, v29, v22
	v_sub_f32_e32 v30, v29, v22
	v_sub_f32_e32 v22, v27, v33
	;; [unrolled: 1-line block ×6, first 2 shown]
	s_and_saveexec_b32 s4, vcc_lo
	s_cbranch_execz .LBB0_7
; %bb.6:
	v_and_b32_e32 v0, 0xffff, v47
	s_delay_alu instid0(VALU_DEP_1)
	v_lshlrev_b32_e32 v0, 3, v0
	ds_store_b128 v0, v[8:11]
	ds_store_b128 v0, v[12:15] offset:16
	ds_store_b128 v0, v[24:27] offset:32
	ds_store_b128 v0, v[28:31] offset:48
	ds_store_b128 v0, v[20:23] offset:64
.LBB0_7:
	s_wait_alu 0xfffe
	s_or_b32 exec_lo, exec_lo, s4
	s_load_b64 s[4:5], s[0:1], 0x20
	v_cmp_gt_u16_e64 s0, 0x96, v43
	global_wb scope:SCOPE_SE
	s_wait_dscnt 0x0
	s_wait_kmcnt 0x0
	s_barrier_signal -1
	s_barrier_wait -1
	global_inv scope:SCOPE_SE
	s_and_saveexec_b32 s1, s0
	s_cbranch_execz .LBB0_9
; %bb.8:
	v_add_nc_u32_e32 v0, 0x800, v44
	ds_load_2addr_b64 v[8:11], v44 offset1:150
	ds_load_2addr_b64 v[12:15], v0 offset0:44 offset1:194
	ds_load_b64 v[24:25], v44 offset:4800
.LBB0_9:
	s_wait_alu 0xfffe
	s_or_b32 exec_lo, exec_lo, s1
	v_and_b32_e32 v16, 0xff, v43
	s_delay_alu instid0(VALU_DEP_1) | instskip(NEXT) | instid1(VALU_DEP_1)
	v_mul_lo_u16 v0, 0xcd, v16
	v_lshrrev_b16 v46, 11, v0
	s_delay_alu instid0(VALU_DEP_1) | instskip(SKIP_1) | instid1(VALU_DEP_2)
	v_mul_lo_u16 v0, v46, 10
	v_and_b32_e32 v46, 0xffff, v46
	v_sub_nc_u16 v0, v43, v0
	s_delay_alu instid0(VALU_DEP_1) | instskip(NEXT) | instid1(VALU_DEP_1)
	v_and_b32_e32 v45, 0xff, v0
	v_lshlrev_b32_e32 v0, 5, v45
	s_clause 0x1
	global_load_b128 v[4:7], v0, s[2:3]
	global_load_b128 v[0:3], v0, s[2:3] offset:16
	global_wb scope:SCOPE_SE
	s_wait_loadcnt_dscnt 0x0
	s_barrier_signal -1
	s_barrier_wait -1
	global_inv scope:SCOPE_SE
	v_mul_f32_e32 v33, v11, v5
	v_dual_mul_f32 v17, v24, v3 :: v_dual_mul_f32 v32, v10, v5
	v_dual_mul_f32 v34, v13, v7 :: v_dual_mul_f32 v35, v15, v1
	;; [unrolled: 1-line block ×3, first 2 shown]
	v_mul_f32_e32 v36, v25, v3
	s_delay_alu instid0(VALU_DEP_4) | instskip(NEXT) | instid1(VALU_DEP_4)
	v_dual_fmac_f32 v32, v11, v4 :: v_dual_fmac_f32 v17, v25, v2
	v_fma_f32 v12, v12, v6, -v34
	v_fma_f32 v11, v14, v0, -v35
	v_dual_fmac_f32 v18, v13, v6 :: v_dual_fmac_f32 v19, v15, v0
	v_fma_f32 v13, v10, v4, -v33
	v_fma_f32 v10, v24, v2, -v36
	s_delay_alu instid0(VALU_DEP_4) | instskip(NEXT) | instid1(VALU_DEP_4)
	v_add_f32_e32 v24, v12, v11
	v_dual_add_f32 v48, v32, v17 :: v_dual_sub_f32 v51, v17, v19
	s_delay_alu instid0(VALU_DEP_4) | instskip(NEXT) | instid1(VALU_DEP_4)
	v_sub_f32_e32 v25, v13, v12
	v_sub_f32_e32 v33, v10, v11
	v_dual_add_f32 v37, v13, v10 :: v_dual_sub_f32 v38, v12, v13
	v_dual_sub_f32 v39, v11, v10 :: v_dual_add_f32 v40, v18, v19
	v_dual_sub_f32 v14, v32, v17 :: v_dual_sub_f32 v15, v18, v19
	v_dual_sub_f32 v36, v13, v10 :: v_dual_sub_f32 v35, v12, v11
	;; [unrolled: 1-line block ×3, first 2 shown]
	v_fma_f32 v34, -0.5, v24, v8
	v_dual_add_f32 v50, v25, v33 :: v_dual_add_f32 v41, v38, v39
	v_fma_f32 v33, -0.5, v37, v8
	v_fma_f32 v40, -0.5, v40, v9
	;; [unrolled: 1-line block ×3, first 2 shown]
	v_dual_sub_f32 v53, v19, v17 :: v_dual_fmamk_f32 v24, v14, 0xbf737871, v34
	s_delay_alu instid0(VALU_DEP_4) | instskip(NEXT) | instid1(VALU_DEP_4)
	v_dual_add_f32 v37, v49, v51 :: v_dual_fmamk_f32 v38, v15, 0x3f737871, v33
	v_fmamk_f32 v25, v36, 0x3f737871, v40
	s_delay_alu instid0(VALU_DEP_4) | instskip(NEXT) | instid1(VALU_DEP_4)
	v_fmamk_f32 v39, v35, 0xbf737871, v48
	v_dual_add_f32 v49, v52, v53 :: v_dual_fmac_f32 v24, 0xbf167918, v15
	s_delay_alu instid0(VALU_DEP_4) | instskip(NEXT) | instid1(VALU_DEP_4)
	v_fmac_f32_e32 v38, 0xbf167918, v14
	v_fmac_f32_e32 v25, 0x3f167918, v35
	s_delay_alu instid0(VALU_DEP_4) | instskip(NEXT) | instid1(VALU_DEP_4)
	v_fmac_f32_e32 v39, 0x3f167918, v36
	v_fmac_f32_e32 v24, 0x3e9e377a, v50
	;; [unrolled: 3-line block ×3, first 2 shown]
	s_delay_alu instid0(VALU_DEP_4)
	v_fmac_f32_e32 v39, 0x3e9e377a, v49
	s_and_saveexec_b32 s1, s0
	s_cbranch_execz .LBB0_11
; %bb.10:
	v_dual_mul_f32 v51, 0x3f737871, v14 :: v_dual_mul_f32 v54, 0x3f737871, v36
	v_mul_f32_e32 v53, 0x3f737871, v35
	v_dual_mul_f32 v14, 0x3f167918, v14 :: v_dual_mul_f32 v35, 0x3f167918, v35
	s_delay_alu instid0(VALU_DEP_3) | instskip(SKIP_1) | instid1(VALU_DEP_4)
	v_dual_mul_f32 v49, 0x3e9e377a, v49 :: v_dual_sub_f32 v40, v40, v54
	v_mul_f32_e32 v36, 0x3f167918, v36
	v_add_f32_e32 v48, v53, v48
	v_add_f32_e32 v8, v8, v13
	v_dual_add_f32 v32, v9, v32 :: v_dual_mul_f32 v37, 0x3e9e377a, v37
	v_sub_f32_e32 v13, v40, v35
	s_delay_alu instid0(VALU_DEP_4) | instskip(SKIP_1) | instid1(VALU_DEP_4)
	v_sub_f32_e32 v36, v48, v36
	v_mul_f32_e32 v52, 0x3f167918, v15
	v_dual_mul_f32 v15, 0x3f737871, v15 :: v_dual_add_f32 v18, v32, v18
	v_add_f32_e32 v8, v8, v12
	v_dual_mul_f32 v50, 0x3e9e377a, v50 :: v_dual_mul_f32 v41, 0x3e9e377a, v41
	v_add_f32_e32 v12, v37, v13
	s_delay_alu instid0(VALU_DEP_4) | instskip(SKIP_4) | instid1(VALU_DEP_2)
	v_sub_f32_e32 v13, v33, v15
	v_add_f32_e32 v15, v18, v19
	v_add_f32_e32 v8, v8, v11
	v_dual_add_f32 v32, v34, v51 :: v_dual_add_f32 v9, v49, v36
	v_mul_u32_u24_e32 v19, 50, v46
	v_add_f32_e32 v18, v52, v32
	s_delay_alu instid0(VALU_DEP_4) | instskip(SKIP_1) | instid1(VALU_DEP_4)
	v_dual_add_f32 v32, v14, v13 :: v_dual_add_f32 v13, v8, v10
	v_add_f32_e32 v14, v15, v17
	v_add_lshl_u32 v10, v19, v45, 3
	s_delay_alu instid0(VALU_DEP_3)
	v_dual_add_f32 v11, v50, v18 :: v_dual_add_f32 v8, v41, v32
	ds_store_2addr_b64 v10, v[13:14], v[11:12] offset1:10
	ds_store_2addr_b64 v10, v[8:9], v[38:39] offset0:20 offset1:30
	ds_store_b64 v10, v[24:25] offset:320
.LBB0_11:
	s_wait_alu 0xfffe
	s_or_b32 exec_lo, exec_lo, s1
	v_mul_lo_u16 v8, v16, 41
	s_load_b128 s[4:7], s[4:5], 0x0
	global_wb scope:SCOPE_SE
	s_wait_dscnt 0x0
	s_wait_kmcnt 0x0
	s_barrier_signal -1
	s_barrier_wait -1
	v_lshrrev_b16 v18, 11, v8
	global_inv scope:SCOPE_SE
	v_mul_lo_u16 v8, v18, 50
	s_delay_alu instid0(VALU_DEP_1) | instskip(NEXT) | instid1(VALU_DEP_1)
	v_sub_nc_u16 v8, v43, v8
	v_and_b32_e32 v19, 0xff, v8
	s_delay_alu instid0(VALU_DEP_1)
	v_lshlrev_b32_e32 v8, 4, v19
	global_load_b128 v[12:15], v8, s[2:3] offset:320
	ds_load_2addr_b64 v[8:11], v44 offset1:250
	ds_load_b64 v[16:17], v44 offset:4000
	v_and_b32_e32 v18, 0xffff, v18
	global_wb scope:SCOPE_SE
	s_wait_loadcnt_dscnt 0x0
	s_barrier_signal -1
	s_barrier_wait -1
	global_inv scope:SCOPE_SE
	v_dual_mul_f32 v33, v17, v15 :: v_dual_mul_f32 v32, v11, v13
	v_dual_mul_f32 v34, v10, v13 :: v_dual_mul_f32 v35, v16, v15
	v_mul_u32_u24_e32 v18, 0x96, v18
	s_delay_alu instid0(VALU_DEP_3) | instskip(NEXT) | instid1(VALU_DEP_4)
	v_fma_f32 v16, v16, v14, -v33
	v_fma_f32 v10, v10, v12, -v32
	s_delay_alu instid0(VALU_DEP_4) | instskip(NEXT) | instid1(VALU_DEP_4)
	v_dual_fmac_f32 v34, v11, v12 :: v_dual_fmac_f32 v35, v17, v14
	v_add_lshl_u32 v48, v18, v19, 3
	s_delay_alu instid0(VALU_DEP_3) | instskip(NEXT) | instid1(VALU_DEP_3)
	v_add_f32_e32 v17, v8, v10
	v_dual_add_f32 v33, v9, v34 :: v_dual_add_f32 v18, v34, v35
	s_delay_alu instid0(VALU_DEP_2) | instskip(SKIP_1) | instid1(VALU_DEP_3)
	v_dual_sub_f32 v19, v34, v35 :: v_dual_add_f32 v32, v17, v16
	v_add_f32_e32 v11, v10, v16
	v_fma_f32 v37, -0.5, v18, v9
	s_delay_alu instid0(VALU_DEP_4) | instskip(NEXT) | instid1(VALU_DEP_3)
	v_add_f32_e32 v33, v33, v35
	v_fma_f32 v36, -0.5, v11, v8
	v_sub_f32_e32 v8, v10, v16
	s_delay_alu instid0(VALU_DEP_2) | instskip(NEXT) | instid1(VALU_DEP_2)
	v_fmamk_f32 v34, v19, 0x3f5db3d7, v36
	v_dual_fmac_f32 v36, 0xbf5db3d7, v19 :: v_dual_fmamk_f32 v35, v8, 0xbf5db3d7, v37
	v_fmac_f32_e32 v37, 0x3f5db3d7, v8
	ds_store_2addr_b64 v48, v[32:33], v[34:35] offset1:50
	ds_store_b64 v48, v[36:37] offset:800
	global_wb scope:SCOPE_SE
	s_wait_dscnt 0x0
	s_barrier_signal -1
	s_barrier_wait -1
	global_inv scope:SCOPE_SE
	s_and_saveexec_b32 s1, s0
	s_cbranch_execz .LBB0_13
; %bb.12:
	v_add_nc_u32_e32 v8, 0x800, v44
	ds_load_2addr_b64 v[32:35], v44 offset1:150
	ds_load_2addr_b64 v[36:39], v8 offset0:44 offset1:194
	ds_load_b64 v[24:25], v44 offset:4800
.LBB0_13:
	s_wait_alu 0xfffe
	s_or_b32 exec_lo, exec_lo, s1
	v_lshlrev_b32_e32 v8, 2, v43
	s_delay_alu instid0(VALU_DEP_1) | instskip(SKIP_2) | instid1(VALU_DEP_2)
	v_add_co_u32 v10, s1, 0xfffffda8, v8
	s_wait_alu 0xf1ff
	v_add_co_ci_u32_e64 v9, null, 0, -1, s1
	v_cndmask_b32_e64 v8, v10, v8, s0
	s_delay_alu instid0(VALU_DEP_2) | instskip(NEXT) | instid1(VALU_DEP_1)
	v_cndmask_b32_e64 v9, v9, 0, s0
	v_lshlrev_b64_e32 v[8:9], 3, v[8:9]
	s_delay_alu instid0(VALU_DEP_1) | instskip(SKIP_1) | instid1(VALU_DEP_2)
	v_add_co_u32 v8, s1, s2, v8
	s_wait_alu 0xf1ff
	v_add_co_ci_u32_e64 v9, s1, s3, v9, s1
	s_clause 0x1
	global_load_b128 v[16:19], v[8:9], off offset:1120
	global_load_b128 v[8:11], v[8:9], off offset:1136
	s_wait_loadcnt_dscnt 0x102
	v_mul_f32_e32 v41, v34, v17
	s_wait_dscnt 0x1
	v_dual_mul_f32 v40, v35, v17 :: v_dual_mul_f32 v49, v37, v19
	s_wait_loadcnt 0x0
	v_dual_mul_f32 v50, v36, v19 :: v_dual_mul_f32 v51, v39, v9
	s_wait_dscnt 0x0
	v_dual_mul_f32 v52, v38, v9 :: v_dual_mul_f32 v53, v25, v11
	v_dual_mul_f32 v54, v24, v11 :: v_dual_fmac_f32 v41, v35, v16
	v_fma_f32 v34, v34, v16, -v40
	v_fma_f32 v35, v36, v18, -v49
	;; [unrolled: 1-line block ×3, first 2 shown]
	v_fmac_f32_e32 v50, v37, v18
	v_fmac_f32_e32 v52, v39, v8
	;; [unrolled: 1-line block ×3, first 2 shown]
	v_fma_f32 v40, v24, v10, -v53
	v_dual_add_f32 v24, v32, v34 :: v_dual_sub_f32 v37, v34, v35
	v_add_f32_e32 v25, v35, v36
	v_sub_f32_e32 v51, v50, v52
	s_delay_alu instid0(VALU_DEP_4)
	v_dual_sub_f32 v49, v41, v54 :: v_dual_sub_f32 v38, v40, v36
	v_sub_f32_e32 v53, v35, v34
	v_dual_add_f32 v39, v34, v40 :: v_dual_add_f32 v56, v33, v41
	v_dual_add_f32 v57, v50, v52 :: v_dual_sub_f32 v62, v52, v54
	v_dual_sub_f32 v58, v34, v40 :: v_dual_add_f32 v61, v41, v54
	v_dual_sub_f32 v55, v36, v40 :: v_dual_sub_f32 v34, v41, v50
	v_sub_f32_e32 v59, v35, v36
	v_dual_sub_f32 v60, v54, v52 :: v_dual_add_f32 v35, v24, v35
	v_sub_f32_e32 v41, v50, v41
	v_fma_f32 v24, -0.5, v25, v32
	v_dual_add_f32 v63, v37, v38 :: v_dual_fmac_f32 v32, -0.5, v39
	v_add_f32_e32 v37, v56, v50
	v_fma_f32 v25, -0.5, v57, v33
	v_fmac_f32_e32 v33, -0.5, v61
	v_dual_add_f32 v53, v53, v55 :: v_dual_add_f32 v50, v34, v60
	v_dual_add_f32 v34, v35, v36 :: v_dual_add_f32 v41, v41, v62
	v_fmamk_f32 v36, v49, 0x3f737871, v24
	v_fmac_f32_e32 v24, 0xbf737871, v49
	v_fmamk_f32 v38, v51, 0xbf737871, v32
	v_dual_fmac_f32 v32, 0x3f737871, v51 :: v_dual_add_f32 v35, v37, v52
	s_delay_alu instid0(VALU_DEP_4)
	v_fmac_f32_e32 v36, 0x3f167918, v51
	v_fmamk_f32 v37, v58, 0xbf737871, v25
	v_dual_fmac_f32 v25, 0x3f737871, v58 :: v_dual_add_f32 v34, v34, v40
	v_fmamk_f32 v39, v59, 0x3f737871, v33
	v_fmac_f32_e32 v33, 0xbf737871, v59
	v_dual_fmac_f32 v24, 0xbf167918, v51 :: v_dual_add_f32 v35, v35, v54
	s_delay_alu instid0(VALU_DEP_4)
	v_dual_fmac_f32 v38, 0x3f167918, v49 :: v_dual_fmac_f32 v25, 0x3f167918, v59
	v_dual_fmac_f32 v32, 0xbf167918, v49 :: v_dual_fmac_f32 v37, 0xbf167918, v59
	v_fmac_f32_e32 v39, 0xbf167918, v58
	v_fmac_f32_e32 v33, 0x3f167918, v58
	;; [unrolled: 1-line block ×3, first 2 shown]
	v_dual_fmac_f32 v24, 0x3e9e377a, v63 :: v_dual_fmac_f32 v25, 0x3e9e377a, v50
	v_fmac_f32_e32 v38, 0x3e9e377a, v53
	v_dual_fmac_f32 v32, 0x3e9e377a, v53 :: v_dual_fmac_f32 v37, 0x3e9e377a, v50
	v_fmac_f32_e32 v39, 0x3e9e377a, v41
	v_fmac_f32_e32 v33, 0x3e9e377a, v41
	s_and_saveexec_b32 s1, s0
	s_cbranch_execz .LBB0_15
; %bb.14:
	v_add_nc_u32_e32 v40, 0x800, v44
	ds_store_2addr_b64 v44, v[34:35], v[36:37] offset1:150
	ds_store_2addr_b64 v40, v[38:39], v[32:33] offset0:44 offset1:194
	ds_store_b64 v44, v[24:25] offset:4800
.LBB0_15:
	s_wait_alu 0xfffe
	s_or_b32 exec_lo, exec_lo, s1
	global_wb scope:SCOPE_SE
	s_wait_dscnt 0x0
	s_barrier_signal -1
	s_barrier_wait -1
	global_inv scope:SCOPE_SE
	s_and_saveexec_b32 s1, vcc_lo
	s_cbranch_execz .LBB0_17
; %bb.16:
	global_load_b64 v[40:41], v44, s[10:11] offset:6000
	s_add_nc_u64 s[2:3], s[10:11], 0x1770
	s_clause 0x8
	global_load_b64 v[49:50], v44, s[2:3] offset:5400
	global_load_b64 v[65:66], v44, s[2:3] offset:600
	;; [unrolled: 1-line block ×9, first 2 shown]
	ds_load_b64 v[51:52], v44
	ds_load_b64 v[53:54], v44 offset:5400
	v_add_nc_u32_e32 v82, 0x400, v44
	s_wait_loadcnt_dscnt 0x800
	v_dual_mul_f32 v57, v54, v50 :: v_dual_add_nc_u32 v84, 0x1000, v44
	v_mul_f32_e32 v55, v52, v41
	v_dual_mul_f32 v56, v51, v41 :: v_dual_mul_f32 v41, v53, v50
	s_delay_alu instid0(VALU_DEP_2) | instskip(NEXT) | instid1(VALU_DEP_2)
	v_fma_f32 v55, v51, v40, -v55
	v_fmac_f32_e32 v56, v52, v40
	v_fma_f32 v40, v53, v49, -v57
	s_delay_alu instid0(VALU_DEP_4)
	v_fmac_f32_e32 v41, v54, v49
	ds_store_b64 v44, v[55:56]
	ds_load_2addr_b64 v[49:52], v44 offset0:75 offset1:150
	ds_load_2addr_b64 v[53:56], v82 offset0:97 offset1:172
	v_add_nc_u32_e32 v83, 0x800, v44
	s_wait_loadcnt_dscnt 0x601
	v_dual_mul_f32 v85, v50, v66 :: v_dual_mul_f32 v86, v52, v68
	v_dual_mul_f32 v81, v49, v66 :: v_dual_mul_f32 v66, v51, v68
	s_wait_loadcnt_dscnt 0x500
	v_mul_f32_e32 v68, v53, v70
	ds_load_2addr_b64 v[57:60], v83 offset0:119 offset1:194
	ds_load_2addr_b64 v[61:64], v84 offset0:13 offset1:88
	s_wait_loadcnt 0x4
	v_dual_mul_f32 v87, v54, v70 :: v_dual_mul_f32 v88, v56, v72
	v_mul_f32_e32 v70, v55, v72
	v_fmac_f32_e32 v66, v52, v67
	v_fmac_f32_e32 v68, v54, v69
	;; [unrolled: 1-line block ×3, first 2 shown]
	s_wait_loadcnt_dscnt 0x301
	v_mul_f32_e32 v89, v58, v74
	v_mul_f32_e32 v72, v57, v74
	s_wait_loadcnt_dscnt 0x100
	v_dual_mul_f32 v90, v60, v76 :: v_dual_mul_f32 v91, v62, v78
	v_mul_f32_e32 v74, v59, v76
	v_mul_f32_e32 v76, v61, v78
	s_wait_loadcnt 0x0
	v_mul_f32_e32 v92, v64, v80
	v_mul_f32_e32 v78, v63, v80
	v_fma_f32 v80, v49, v65, -v85
	v_fma_f32 v65, v51, v67, -v86
	;; [unrolled: 1-line block ×4, first 2 shown]
	v_fmac_f32_e32 v70, v56, v71
	v_fma_f32 v71, v57, v73, -v89
	v_fmac_f32_e32 v72, v58, v73
	v_fma_f32 v73, v59, v75, -v90
	;; [unrolled: 2-line block ×4, first 2 shown]
	v_fmac_f32_e32 v78, v64, v79
	ds_store_2addr_b64 v44, v[80:81], v[65:66] offset0:75 offset1:150
	ds_store_2addr_b64 v82, v[67:68], v[69:70] offset0:97 offset1:172
	;; [unrolled: 1-line block ×4, first 2 shown]
	ds_store_b64 v44, v[40:41] offset:5400
.LBB0_17:
	s_wait_alu 0xfffe
	s_or_b32 exec_lo, exec_lo, s1
	global_wb scope:SCOPE_SE
	s_wait_dscnt 0x0
	s_barrier_signal -1
	s_barrier_wait -1
	global_inv scope:SCOPE_SE
	s_and_saveexec_b32 s1, vcc_lo
	s_cbranch_execz .LBB0_19
; %bb.18:
	ds_load_2addr_b64 v[38:41], v44 offset0:150 offset1:225
	v_add_nc_u32_e32 v20, 0x800, v44
	v_add_nc_u32_e32 v21, 0xc00, v44
	;; [unrolled: 1-line block ×3, first 2 shown]
	s_wait_dscnt 0x0
	v_dual_mov_b32 v32, v40 :: v_dual_mov_b32 v33, v41
	ds_load_2addr_b64 v[34:37], v44 offset1:75
	ds_load_2addr_b64 v[24:27], v20 offset0:44 offset1:119
	ds_load_2addr_b64 v[28:31], v21 offset0:66 offset1:141
	;; [unrolled: 1-line block ×3, first 2 shown]
.LBB0_19:
	s_wait_alu 0xfffe
	s_or_b32 exec_lo, exec_lo, s1
	s_wait_dscnt 0x1
	v_dual_add_f32 v40, v24, v28 :: v_dual_add_f32 v41, v34, v38
	s_wait_dscnt 0x0
	v_dual_sub_f32 v52, v39, v21 :: v_dual_sub_f32 v49, v38, v24
	v_dual_sub_f32 v51, v25, v29 :: v_dual_sub_f32 v50, v20, v28
	s_delay_alu instid0(VALU_DEP_3) | instskip(SKIP_2) | instid1(VALU_DEP_3)
	v_fma_f32 v40, -0.5, v40, v34
	v_add_f32_e32 v53, v38, v20
	v_dual_add_f32 v54, v41, v24 :: v_dual_sub_f32 v55, v24, v38
	v_dual_add_f32 v56, v49, v50 :: v_dual_fmamk_f32 v41, v52, 0xbf737871, v40
	s_delay_alu instid0(VALU_DEP_2) | instskip(SKIP_2) | instid1(VALU_DEP_3)
	v_dual_fmac_f32 v34, -0.5, v53 :: v_dual_add_f32 v49, v54, v28
	v_dual_sub_f32 v53, v28, v20 :: v_dual_add_f32 v54, v35, v39
	v_dual_fmac_f32 v40, 0x3f737871, v52 :: v_dual_add_f32 v57, v25, v29
	v_fmamk_f32 v50, v51, 0x3f737871, v34
	v_fmac_f32_e32 v41, 0xbf167918, v51
	s_delay_alu instid0(VALU_DEP_4) | instskip(SKIP_1) | instid1(VALU_DEP_4)
	v_dual_add_f32 v53, v55, v53 :: v_dual_fmac_f32 v34, 0xbf737871, v51
	v_add_f32_e32 v54, v54, v25
	v_fmac_f32_e32 v50, 0xbf167918, v52
	s_delay_alu instid0(VALU_DEP_4)
	v_fmac_f32_e32 v41, 0x3e9e377a, v56
	v_dual_add_f32 v49, v49, v20 :: v_dual_fmac_f32 v40, 0x3f167918, v51
	v_fma_f32 v51, -0.5, v57, v35
	v_dual_sub_f32 v20, v38, v20 :: v_dual_sub_f32 v55, v21, v29
	v_fmac_f32_e32 v34, 0x3f167918, v52
	v_add_f32_e32 v52, v54, v29
	v_sub_f32_e32 v24, v24, v28
	v_add_f32_e32 v54, v39, v21
	v_fmac_f32_e32 v40, 0x3e9e377a, v56
	v_fmac_f32_e32 v50, 0x3e9e377a, v53
	v_dual_sub_f32 v28, v39, v25 :: v_dual_sub_f32 v25, v25, v39
	v_fmamk_f32 v38, v20, 0x3f737871, v51
	v_fmac_f32_e32 v35, -0.5, v54
	v_dual_fmac_f32 v51, 0xbf737871, v20 :: v_dual_add_f32 v52, v52, v21
	v_sub_f32_e32 v21, v29, v21
	v_add_f32_e32 v29, v36, v32
	v_add_f32_e32 v28, v28, v55
	v_sub_f32_e32 v54, v26, v32
	v_sub_f32_e32 v55, v30, v22
	v_add_f32_e32 v21, v25, v21
	v_dual_add_f32 v25, v26, v30 :: v_dual_fmac_f32 v38, 0x3f167918, v24
	v_fmac_f32_e32 v51, 0xbf167918, v24
	v_fmac_f32_e32 v34, 0x3e9e377a, v53
	v_fmamk_f32 v53, v24, 0xbf737871, v35
	v_dual_fmac_f32 v35, 0x3f737871, v24 :: v_dual_add_f32 v24, v29, v26
	v_fma_f32 v25, -0.5, v25, v36
	v_sub_f32_e32 v29, v22, v30
	s_delay_alu instid0(VALU_DEP_4) | instskip(NEXT) | instid1(VALU_DEP_4)
	v_fmac_f32_e32 v53, 0x3f167918, v20
	v_dual_fmac_f32 v35, 0xbf167918, v20 :: v_dual_add_f32 v20, v24, v30
	v_dual_fmac_f32 v51, 0x3e9e377a, v28 :: v_dual_add_f32 v24, v32, v22
	s_delay_alu instid0(VALU_DEP_3) | instskip(NEXT) | instid1(VALU_DEP_3)
	v_fmac_f32_e32 v53, 0x3e9e377a, v21
	v_fmac_f32_e32 v35, 0x3e9e377a, v21
	s_delay_alu instid0(VALU_DEP_4) | instskip(SKIP_4) | instid1(VALU_DEP_4)
	v_dual_add_f32 v39, v20, v22 :: v_dual_fmac_f32 v38, 0x3e9e377a, v28
	v_sub_f32_e32 v28, v33, v23
	v_sub_f32_e32 v20, v27, v31
	v_fmac_f32_e32 v36, -0.5, v24
	v_sub_f32_e32 v24, v32, v26
	v_dual_sub_f32 v26, v26, v30 :: v_dual_fmamk_f32 v21, v28, 0xbf737871, v25
	s_delay_alu instid0(VALU_DEP_3) | instskip(NEXT) | instid1(VALU_DEP_3)
	v_dual_fmac_f32 v25, 0x3f737871, v28 :: v_dual_fmamk_f32 v58, v20, 0x3f737871, v36
	v_dual_add_f32 v24, v24, v29 :: v_dual_add_f32 v29, v54, v55
	s_delay_alu instid0(VALU_DEP_3) | instskip(NEXT) | instid1(VALU_DEP_3)
	v_fmac_f32_e32 v21, 0xbf167918, v20
	v_fmac_f32_e32 v25, 0x3f167918, v20
	s_delay_alu instid0(VALU_DEP_4) | instskip(SKIP_1) | instid1(VALU_DEP_4)
	v_fmac_f32_e32 v58, 0xbf167918, v28
	v_fmac_f32_e32 v36, 0xbf737871, v20
	v_dual_add_f32 v20, v27, v31 :: v_dual_fmac_f32 v21, 0x3e9e377a, v24
	s_delay_alu instid0(VALU_DEP_4) | instskip(NEXT) | instid1(VALU_DEP_3)
	v_dual_fmac_f32 v25, 0x3e9e377a, v24 :: v_dual_add_f32 v24, v33, v23
	v_fmac_f32_e32 v36, 0x3f167918, v28
	s_delay_alu instid0(VALU_DEP_3) | instskip(SKIP_1) | instid1(VALU_DEP_4)
	v_fma_f32 v28, -0.5, v20, v37
	v_sub_f32_e32 v20, v32, v22
	v_dual_add_f32 v22, v37, v33 :: v_dual_fmac_f32 v37, -0.5, v24
	v_sub_f32_e32 v30, v23, v31
	v_sub_f32_e32 v32, v27, v33
	global_wb scope:SCOPE_SE
	s_barrier_signal -1
	v_fmamk_f32 v56, v26, 0xbf737871, v37
	v_fmac_f32_e32 v37, 0x3f737871, v26
	s_barrier_wait -1
	global_inv scope:SCOPE_SE
	v_dual_fmac_f32 v37, 0xbf167918, v20 :: v_dual_sub_f32 v24, v33, v27
	v_dual_sub_f32 v33, v31, v23 :: v_dual_fmac_f32 v58, 0x3e9e377a, v29
	s_delay_alu instid0(VALU_DEP_2) | instskip(SKIP_3) | instid1(VALU_DEP_2)
	v_dual_mul_f32 v55, 0x3f167918, v21 :: v_dual_add_f32 v24, v24, v30
	v_fmac_f32_e32 v36, 0x3e9e377a, v29
	v_fmamk_f32 v29, v20, 0x3f737871, v28
	v_fmac_f32_e32 v28, 0xbf737871, v20
	v_fmac_f32_e32 v29, 0x3f167918, v26
	s_delay_alu instid0(VALU_DEP_2) | instskip(NEXT) | instid1(VALU_DEP_2)
	v_fmac_f32_e32 v28, 0xbf167918, v26
	v_fmac_f32_e32 v29, 0x3e9e377a, v24
	s_delay_alu instid0(VALU_DEP_2) | instskip(NEXT) | instid1(VALU_DEP_2)
	v_fmac_f32_e32 v28, 0x3e9e377a, v24
	v_fmac_f32_e32 v55, 0x3f4f1bbd, v29
	s_delay_alu instid0(VALU_DEP_2) | instskip(SKIP_2) | instid1(VALU_DEP_3)
	v_dual_mul_f32 v57, 0xbf4f1bbd, v28 :: v_dual_add_f32 v30, v32, v33
	v_fmac_f32_e32 v56, 0x3f167918, v20
	v_mul_f32_e32 v32, 0xbf167918, v29
	v_fmac_f32_e32 v57, 0x3f167918, v25
	s_delay_alu instid0(VALU_DEP_4) | instskip(NEXT) | instid1(VALU_DEP_3)
	v_dual_fmac_f32 v37, 0x3e9e377a, v30 :: v_dual_add_f32 v20, v22, v27
	v_fmac_f32_e32 v32, 0x3f4f1bbd, v21
	s_delay_alu instid0(VALU_DEP_3) | instskip(NEXT) | instid1(VALU_DEP_3)
	v_add_f32_e32 v29, v51, v57
	v_mul_f32_e32 v33, 0xbf737871, v37
	s_delay_alu instid0(VALU_DEP_4) | instskip(SKIP_2) | instid1(VALU_DEP_4)
	v_dual_mul_f32 v37, 0xbe9e377a, v37 :: v_dual_add_f32 v20, v20, v31
	v_mul_f32_e32 v54, 0xbf167918, v28
	v_add_f32_e32 v22, v41, v32
	v_fmac_f32_e32 v33, 0xbe9e377a, v36
	s_delay_alu instid0(VALU_DEP_4) | instskip(SKIP_2) | instid1(VALU_DEP_2)
	v_fmac_f32_e32 v37, 0x3f737871, v36
	v_dual_fmac_f32 v56, 0x3e9e377a, v30 :: v_dual_add_f32 v31, v20, v23
	v_dual_add_f32 v23, v38, v55 :: v_dual_fmac_f32 v54, 0xbf4f1bbd, v25
	v_dual_add_f32 v27, v35, v37 :: v_dual_mul_f32 v30, 0xbf737871, v56
	v_mul_f32_e32 v56, 0x3e9e377a, v56
	v_add_f32_e32 v20, v49, v39
	v_add_f32_e32 v26, v34, v33
	;; [unrolled: 1-line block ×3, first 2 shown]
	v_fmac_f32_e32 v30, 0x3e9e377a, v58
	v_dual_fmac_f32 v56, 0x3f737871, v58 :: v_dual_add_f32 v21, v52, v31
	s_delay_alu instid0(VALU_DEP_1)
	v_dual_add_f32 v24, v50, v30 :: v_dual_add_f32 v25, v53, v56
	s_and_saveexec_b32 s1, vcc_lo
	s_cbranch_execz .LBB0_21
; %bb.20:
	v_dual_sub_f32 v59, v51, v57 :: v_dual_sub_f32 v58, v40, v54
	v_sub_f32_e32 v57, v35, v37
	v_and_b32_e32 v35, 0xffff, v47
	v_dual_sub_f32 v31, v52, v31 :: v_dual_sub_f32 v52, v50, v30
	v_sub_f32_e32 v50, v41, v32
	v_sub_f32_e32 v30, v49, v39
	s_delay_alu instid0(VALU_DEP_4)
	v_lshlrev_b32_e32 v35, 3, v35
	v_dual_sub_f32 v53, v53, v56 :: v_dual_sub_f32 v56, v34, v33
	v_sub_f32_e32 v51, v38, v55
	ds_store_b128 v35, v[20:23]
	ds_store_b128 v35, v[24:27] offset:16
	ds_store_b128 v35, v[28:31] offset:32
	ds_store_b128 v35, v[50:53] offset:48
	ds_store_b128 v35, v[56:59] offset:64
.LBB0_21:
	s_wait_alu 0xfffe
	s_or_b32 exec_lo, exec_lo, s1
	global_wb scope:SCOPE_SE
	s_wait_dscnt 0x0
	s_barrier_signal -1
	s_barrier_wait -1
	global_inv scope:SCOPE_SE
	s_and_saveexec_b32 s1, s0
	s_cbranch_execz .LBB0_23
; %bb.22:
	v_add_nc_u32_e32 v24, 0x800, v44
	ds_load_2addr_b64 v[20:23], v44 offset1:150
	ds_load_2addr_b64 v[24:27], v24 offset0:44 offset1:194
	ds_load_b64 v[28:29], v44 offset:4800
.LBB0_23:
	s_wait_alu 0xfffe
	s_or_b32 exec_lo, exec_lo, s1
	s_wait_dscnt 0x2
	v_mul_f32_e32 v32, v5, v22
	s_wait_dscnt 0x1
	v_dual_mul_f32 v30, v7, v25 :: v_dual_mul_f32 v31, v1, v27
	v_mul_f32_e32 v5, v5, v23
	v_mul_f32_e32 v7, v7, v24
	v_fma_f32 v32, v4, v23, -v32
	s_delay_alu instid0(VALU_DEP_4)
	v_fmac_f32_e32 v30, v6, v24
	s_wait_dscnt 0x0
	v_dual_mul_f32 v23, v3, v28 :: v_dual_mul_f32 v24, v1, v26
	v_fma_f32 v7, v6, v25, -v7
	v_fmac_f32_e32 v31, v0, v26
	v_fmac_f32_e32 v5, v4, v22
	s_delay_alu instid0(VALU_DEP_4)
	v_fma_f32 v6, v2, v29, -v23
	v_fma_f32 v0, v0, v27, -v24
	v_mul_f32_e32 v1, v3, v29
	global_wb scope:SCOPE_SE
	s_barrier_signal -1
	s_barrier_wait -1
	v_dual_sub_f32 v26, v7, v0 :: v_dual_sub_f32 v25, v32, v6
	v_add_f32_e32 v3, v30, v31
	v_sub_f32_e32 v37, v6, v0
	v_sub_f32_e32 v33, v30, v31
	;; [unrolled: 1-line block ×3, first 2 shown]
	global_inv scope:SCOPE_SE
	v_fma_f32 v4, -0.5, v3, v20
	v_sub_f32_e32 v38, v7, v32
	v_sub_f32_e32 v34, v32, v7
	s_delay_alu instid0(VALU_DEP_3) | instskip(SKIP_1) | instid1(VALU_DEP_3)
	v_dual_fmamk_f32 v22, v25, 0x3f737871, v4 :: v_dual_fmac_f32 v1, v2, v28
	v_sub_f32_e32 v2, v5, v30
	v_add_f32_e32 v34, v34, v37
	s_delay_alu instid0(VALU_DEP_3) | instskip(NEXT) | instid1(VALU_DEP_4)
	v_dual_add_f32 v37, v38, v39 :: v_dual_fmac_f32 v22, 0x3f167918, v26
	v_sub_f32_e32 v23, v1, v31
	s_delay_alu instid0(VALU_DEP_1) | instskip(SKIP_2) | instid1(VALU_DEP_3)
	v_dual_add_f32 v28, v2, v23 :: v_dual_add_f32 v3, v5, v1
	v_sub_f32_e32 v27, v30, v5
	v_add_f32_e32 v23, v32, v6
	v_dual_sub_f32 v35, v5, v1 :: v_dual_fmac_f32 v22, 0x3e9e377a, v28
	s_delay_alu instid0(VALU_DEP_4) | instskip(NEXT) | instid1(VALU_DEP_3)
	v_fma_f32 v24, -0.5, v3, v20
	v_fma_f32 v36, -0.5, v23, v21
	s_delay_alu instid0(VALU_DEP_2) | instskip(NEXT) | instid1(VALU_DEP_1)
	v_dual_fmamk_f32 v2, v26, 0xbf737871, v24 :: v_dual_add_f32 v3, v7, v0
	v_fmac_f32_e32 v2, 0x3f167918, v25
	v_sub_f32_e32 v29, v31, v1
	s_delay_alu instid0(VALU_DEP_1) | instskip(NEXT) | instid1(VALU_DEP_4)
	v_add_f32_e32 v27, v27, v29
	v_fma_f32 v29, -0.5, v3, v21
	v_fmamk_f32 v3, v33, 0x3f737871, v36
	s_delay_alu instid0(VALU_DEP_3) | instskip(NEXT) | instid1(VALU_DEP_3)
	v_fmac_f32_e32 v2, 0x3e9e377a, v27
	v_fmamk_f32 v23, v35, 0xbf737871, v29
	s_delay_alu instid0(VALU_DEP_3) | instskip(NEXT) | instid1(VALU_DEP_2)
	v_fmac_f32_e32 v3, 0xbf167918, v35
	v_fmac_f32_e32 v23, 0xbf167918, v33
	s_delay_alu instid0(VALU_DEP_2) | instskip(NEXT) | instid1(VALU_DEP_2)
	v_fmac_f32_e32 v3, 0x3e9e377a, v37
	v_fmac_f32_e32 v23, 0x3e9e377a, v34
	s_and_saveexec_b32 s1, s0
	s_cbranch_execz .LBB0_25
; %bb.24:
	v_dual_mul_f32 v38, 0x3f737871, v25 :: v_dual_mul_f32 v41, 0x3f737871, v35
	v_dual_mul_f32 v35, 0x3f167918, v35 :: v_dual_add_f32 v20, v20, v5
	v_mul_f32_e32 v40, 0x3f737871, v33
	v_mul_f32_e32 v39, 0x3f167918, v26
	s_delay_alu instid0(VALU_DEP_4) | instskip(SKIP_1) | instid1(VALU_DEP_4)
	v_dual_mul_f32 v26, 0x3f737871, v26 :: v_dual_add_f32 v29, v29, v41
	v_dual_mul_f32 v25, 0x3f167918, v25 :: v_dual_sub_f32 v4, v4, v38
	v_dual_sub_f32 v36, v36, v40 :: v_dual_mul_f32 v33, 0x3f167918, v33
	v_dual_add_f32 v20, v20, v30 :: v_dual_add_f32 v21, v21, v32
	s_delay_alu instid0(VALU_DEP_3)
	v_sub_f32_e32 v4, v4, v39
	v_dual_mul_f32 v28, 0x3e9e377a, v28 :: v_dual_mul_f32 v27, 0x3e9e377a, v27
	v_dual_mul_f32 v37, 0x3e9e377a, v37 :: v_dual_mul_f32 v32, 0x3e9e377a, v34
	v_dual_add_f32 v29, v33, v29 :: v_dual_add_f32 v24, v26, v24
	v_add_f32_e32 v21, v21, v7
	v_dual_add_f32 v35, v35, v36 :: v_dual_add_f32 v20, v20, v31
	s_delay_alu instid0(VALU_DEP_3) | instskip(SKIP_1) | instid1(VALU_DEP_4)
	v_add_f32_e32 v7, v32, v29
	v_mul_u32_u24_e32 v26, 50, v46
	v_add_f32_e32 v0, v21, v0
	s_delay_alu instid0(VALU_DEP_4) | instskip(SKIP_1) | instid1(VALU_DEP_3)
	v_dual_add_f32 v5, v37, v35 :: v_dual_sub_f32 v24, v24, v25
	v_add_f32_e32 v20, v20, v1
	v_add_f32_e32 v21, v0, v6
	v_add_f32_e32 v6, v28, v4
	s_delay_alu instid0(VALU_DEP_4)
	v_add_f32_e32 v4, v27, v24
	v_add_lshl_u32 v0, v26, v45, 3
	ds_store_2addr_b64 v0, v[20:21], v[6:7] offset1:10
	ds_store_2addr_b64 v0, v[4:5], v[2:3] offset0:20 offset1:30
	ds_store_b64 v0, v[22:23] offset:320
.LBB0_25:
	s_wait_alu 0xfffe
	s_or_b32 exec_lo, exec_lo, s1
	global_wb scope:SCOPE_SE
	s_wait_dscnt 0x0
	s_barrier_signal -1
	s_barrier_wait -1
	global_inv scope:SCOPE_SE
	ds_load_2addr_b64 v[4:7], v44 offset1:250
	ds_load_b64 v[0:1], v44 offset:4000
	global_wb scope:SCOPE_SE
	s_wait_dscnt 0x0
	s_barrier_signal -1
	s_barrier_wait -1
	global_inv scope:SCOPE_SE
	v_dual_mul_f32 v20, v13, v7 :: v_dual_mul_f32 v21, v15, v1
	s_delay_alu instid0(VALU_DEP_1) | instskip(NEXT) | instid1(VALU_DEP_2)
	v_dual_mul_f32 v15, v15, v0 :: v_dual_fmac_f32 v20, v12, v6
	v_fmac_f32_e32 v21, v14, v0
	v_mul_f32_e32 v13, v13, v6
	s_delay_alu instid0(VALU_DEP_3) | instskip(NEXT) | instid1(VALU_DEP_2)
	v_fma_f32 v6, v14, v1, -v15
	v_fma_f32 v0, v12, v7, -v13
	s_delay_alu instid0(VALU_DEP_1) | instskip(SKIP_3) | instid1(VALU_DEP_3)
	v_add_f32_e32 v12, v0, v6
	v_dual_add_f32 v1, v20, v21 :: v_dual_add_f32 v14, v5, v0
	v_sub_f32_e32 v13, v0, v6
	v_sub_f32_e32 v15, v20, v21
	v_fma_f32 v0, -0.5, v1, v4
	v_add_f32_e32 v7, v4, v20
	v_fma_f32 v1, -0.5, v12, v5
	s_delay_alu instid0(VALU_DEP_3) | instskip(SKIP_1) | instid1(VALU_DEP_4)
	v_dual_add_f32 v5, v14, v6 :: v_dual_fmamk_f32 v6, v13, 0xbf5db3d7, v0
	v_fmac_f32_e32 v0, 0x3f5db3d7, v13
	v_add_f32_e32 v4, v7, v21
	s_delay_alu instid0(VALU_DEP_4)
	v_fmamk_f32 v7, v15, 0x3f5db3d7, v1
	v_fmac_f32_e32 v1, 0xbf5db3d7, v15
	ds_store_2addr_b64 v48, v[4:5], v[6:7] offset1:50
	ds_store_b64 v48, v[0:1] offset:800
	global_wb scope:SCOPE_SE
	s_wait_dscnt 0x0
	s_barrier_signal -1
	s_barrier_wait -1
	global_inv scope:SCOPE_SE
	s_and_saveexec_b32 s1, s0
	s_cbranch_execz .LBB0_27
; %bb.26:
	v_add_nc_u32_e32 v0, 0x800, v44
	ds_load_2addr_b64 v[4:7], v44 offset1:150
	ds_load_2addr_b64 v[0:3], v0 offset0:44 offset1:194
	ds_load_b64 v[22:23], v44 offset:4800
.LBB0_27:
	s_wait_alu 0xfffe
	s_or_b32 exec_lo, exec_lo, s1
	s_and_saveexec_b32 s1, s0
	s_cbranch_execz .LBB0_29
; %bb.28:
	s_wait_dscnt 0x1
	v_dual_mul_f32 v12, v17, v6 :: v_dual_mul_f32 v15, v19, v1
	v_dual_mul_f32 v14, v19, v0 :: v_dual_mul_f32 v19, v9, v3
	s_delay_alu instid0(VALU_DEP_2) | instskip(NEXT) | instid1(VALU_DEP_2)
	v_fma_f32 v12, v16, v7, -v12
	v_fma_f32 v14, v18, v1, -v14
	s_wait_dscnt 0x0
	v_mul_f32_e32 v13, v11, v22
	v_mul_f32_e32 v7, v17, v7
	s_delay_alu instid0(VALU_DEP_2)
	v_fma_f32 v13, v10, v23, -v13
	v_mul_f32_e32 v1, v9, v2
	v_mul_f32_e32 v9, v11, v23
	v_fmac_f32_e32 v19, v8, v2
	v_fmac_f32_e32 v7, v16, v6
	v_sub_f32_e32 v16, v12, v14
	s_delay_alu instid0(VALU_DEP_4) | instskip(SKIP_2) | instid1(VALU_DEP_3)
	v_fmac_f32_e32 v9, v10, v22
	v_dual_fmac_f32 v15, v18, v0 :: v_dual_add_f32 v0, v12, v13
	v_fma_f32 v2, v8, v3, -v1
	v_sub_f32_e32 v10, v7, v9
	s_delay_alu instid0(VALU_DEP_3) | instskip(SKIP_1) | instid1(VALU_DEP_4)
	v_fma_f32 v1, -0.5, v0, v5
	v_sub_f32_e32 v0, v14, v12
	v_sub_f32_e32 v6, v2, v13
	v_dual_add_f32 v8, v14, v2 :: v_dual_sub_f32 v11, v15, v19
	s_delay_alu instid0(VALU_DEP_2) | instskip(NEXT) | instid1(VALU_DEP_2)
	v_add_f32_e32 v0, v0, v6
	v_fma_f32 v6, -0.5, v8, v5
	s_delay_alu instid0(VALU_DEP_3) | instskip(NEXT) | instid1(VALU_DEP_2)
	v_fmamk_f32 v3, v11, 0x3f737871, v1
	v_fmamk_f32 v8, v10, 0xbf737871, v6
	v_fmac_f32_e32 v6, 0x3f737871, v10
	v_fmac_f32_e32 v1, 0xbf737871, v11
	s_delay_alu instid0(VALU_DEP_4) | instskip(NEXT) | instid1(VALU_DEP_4)
	v_fmac_f32_e32 v3, 0xbf167918, v10
	v_dual_sub_f32 v17, v13, v2 :: v_dual_fmac_f32 v8, 0xbf167918, v11
	s_delay_alu instid0(VALU_DEP_3) | instskip(NEXT) | instid1(VALU_DEP_2)
	v_dual_fmac_f32 v6, 0x3f167918, v11 :: v_dual_fmac_f32 v1, 0x3f167918, v10
	v_add_f32_e32 v10, v16, v17
	v_dual_sub_f32 v16, v19, v9 :: v_dual_add_f32 v5, v5, v12
	v_fmac_f32_e32 v3, 0x3e9e377a, v0
	s_delay_alu instid0(VALU_DEP_4) | instskip(NEXT) | instid1(VALU_DEP_4)
	v_dual_fmac_f32 v1, 0x3e9e377a, v0 :: v_dual_add_f32 v0, v7, v9
	v_fmac_f32_e32 v8, 0x3e9e377a, v10
	s_delay_alu instid0(VALU_DEP_4) | instskip(SKIP_1) | instid1(VALU_DEP_4)
	v_dual_add_f32 v5, v5, v14 :: v_dual_sub_f32 v12, v12, v13
	v_sub_f32_e32 v14, v14, v2
	v_fma_f32 v0, -0.5, v0, v4
	v_add_f32_e32 v17, v15, v19
	s_delay_alu instid0(VALU_DEP_4) | instskip(SKIP_1) | instid1(VALU_DEP_4)
	v_add_f32_e32 v5, v5, v2
	v_fmac_f32_e32 v6, 0x3e9e377a, v10
	v_dual_fmamk_f32 v2, v14, 0xbf737871, v0 :: v_dual_sub_f32 v11, v15, v7
	s_delay_alu instid0(VALU_DEP_3) | instskip(SKIP_2) | instid1(VALU_DEP_4)
	v_add_f32_e32 v10, v5, v13
	v_fmac_f32_e32 v0, 0x3f737871, v14
	v_fma_f32 v5, -0.5, v17, v4
	v_dual_add_f32 v4, v4, v7 :: v_dual_add_f32 v11, v11, v16
	v_dual_sub_f32 v13, v7, v15 :: v_dual_fmac_f32 v2, 0x3f167918, v12
	s_delay_alu instid0(VALU_DEP_3) | instskip(NEXT) | instid1(VALU_DEP_3)
	v_dual_sub_f32 v16, v9, v19 :: v_dual_fmamk_f32 v7, v12, 0x3f737871, v5
	v_dual_fmac_f32 v5, 0xbf737871, v12 :: v_dual_add_f32 v4, v4, v15
	v_fmac_f32_e32 v0, 0xbf167918, v12
	s_delay_alu instid0(VALU_DEP_3) | instskip(NEXT) | instid1(VALU_DEP_3)
	v_dual_add_f32 v12, v13, v16 :: v_dual_fmac_f32 v7, 0x3f167918, v14
	v_dual_fmac_f32 v5, 0xbf167918, v14 :: v_dual_add_f32 v4, v4, v19
	s_delay_alu instid0(VALU_DEP_2) | instskip(NEXT) | instid1(VALU_DEP_2)
	v_dual_fmac_f32 v0, 0x3e9e377a, v11 :: v_dual_fmac_f32 v7, 0x3e9e377a, v12
	v_dual_fmac_f32 v5, 0x3e9e377a, v12 :: v_dual_fmac_f32 v2, 0x3e9e377a, v11
	s_delay_alu instid0(VALU_DEP_3)
	v_dual_add_f32 v9, v4, v9 :: v_dual_add_nc_u32 v4, 0x800, v44
	ds_store_2addr_b64 v44, v[9:10], v[5:6] offset1:150
	ds_store_2addr_b64 v4, v[0:1], v[2:3] offset0:44 offset1:194
	ds_store_b64 v44, v[7:8] offset:4800
.LBB0_29:
	s_wait_alu 0xfffe
	s_or_b32 exec_lo, exec_lo, s1
	global_wb scope:SCOPE_SE
	s_wait_dscnt 0x0
	s_barrier_signal -1
	s_barrier_wait -1
	global_inv scope:SCOPE_SE
	s_and_b32 exec_lo, exec_lo, vcc_lo
	s_cbranch_execz .LBB0_31
; %bb.30:
	s_clause 0x9
	global_load_b64 v[16:17], v44, s[10:11]
	global_load_b64 v[18:19], v44, s[10:11] offset:600
	global_load_b64 v[20:21], v44, s[10:11] offset:1200
	;; [unrolled: 1-line block ×9, first 2 shown]
	ds_load_b64 v[36:37], v44
	ds_load_2addr_b64 v[0:3], v44 offset0:75 offset1:150
	v_mad_co_u64_u32 v[38:39], null, s6, v42, 0
	v_mad_co_u64_u32 v[40:41], null, s4, v43, 0
	v_add_nc_u32_e32 v4, 0x400, v44
	v_add_nc_u32_e32 v8, 0x800, v44
	;; [unrolled: 1-line block ×3, first 2 shown]
	s_mov_b32 s0, 0xc3ece2a5
	s_mov_b32 s1, 0x3f55d867
	s_delay_alu instid0(VALU_DEP_4)
	v_mad_co_u64_u32 v[46:47], null, s7, v42, v[39:40]
	s_wait_loadcnt_dscnt 0x901
	v_mul_f32_e32 v39, v37, v17
	ds_load_2addr_b64 v[4:7], v4 offset0:97 offset1:172
	s_wait_loadcnt_dscnt 0x801
	v_dual_mul_f32 v17, v36, v17 :: v_dual_mul_f32 v42, v1, v19
	s_wait_loadcnt 0x7
	v_mul_f32_e32 v47, v3, v21
	v_mul_f32_e32 v19, v0, v19
	ds_load_2addr_b64 v[8:11], v8 offset0:119 offset1:194
	ds_load_2addr_b64 v[12:15], v12 offset0:13 offset1:88
	ds_load_b64 v[44:45], v44 offset:5400
	v_mul_f32_e32 v21, v2, v21
	v_fmac_f32_e32 v39, v36, v16
	v_fma_f32 v16, v16, v37, -v17
	v_fma_f32 v17, v18, v1, -v19
	v_fmac_f32_e32 v42, v0, v18
	s_delay_alu instid0(VALU_DEP_4) | instskip(SKIP_1) | instid1(VALU_DEP_1)
	v_cvt_f64_f32_e32 v[0:1], v39
	v_mov_b32_e32 v39, v46
	v_lshlrev_b64_e32 v[38:39], 3, v[38:39]
	s_wait_loadcnt_dscnt 0x603
	v_mul_f32_e32 v48, v5, v23
	v_mul_f32_e32 v23, v4, v23
	s_wait_loadcnt_dscnt 0x402
	v_dual_mul_f32 v49, v7, v25 :: v_dual_mul_f32 v50, v9, v27
	s_wait_loadcnt_dscnt 0x201
	v_dual_mul_f32 v25, v6, v25 :: v_dual_mul_f32 v52, v13, v31
	v_mul_f32_e32 v27, v8, v27
	s_wait_loadcnt_dscnt 0x0
	v_dual_mul_f32 v51, v11, v29 :: v_dual_mul_f32 v54, v45, v35
	v_mul_f32_e32 v29, v10, v29
	v_mul_f32_e32 v31, v12, v31
	v_dual_fmac_f32 v47, v2, v20 :: v_dual_fmac_f32 v52, v12, v30
	v_fma_f32 v18, v20, v3, -v21
	v_dual_mul_f32 v53, v15, v33 :: v_dual_fmac_f32 v48, v4, v22
	v_dual_mul_f32 v33, v14, v33 :: v_dual_fmac_f32 v50, v8, v26
	v_fma_f32 v19, v22, v5, -v23
	v_mul_f32_e32 v35, v44, v35
	v_dual_fmac_f32 v49, v6, v24 :: v_dual_fmac_f32 v54, v44, v34
	v_fma_f32 v20, v24, v7, -v25
	v_fma_f32 v22, v26, v9, -v27
	v_cvt_f64_f32_e32 v[2:3], v16
	v_fmac_f32_e32 v51, v10, v28
	v_fma_f32 v26, v28, v11, -v29
	v_cvt_f64_f32_e32 v[4:5], v42
	v_cvt_f64_f32_e32 v[6:7], v17
	v_fma_f32 v30, v30, v13, -v31
	v_cvt_f64_f32_e32 v[8:9], v47
	v_cvt_f64_f32_e32 v[10:11], v18
	v_fmac_f32_e32 v53, v14, v32
	v_fma_f32 v36, v32, v15, -v33
	v_cvt_f64_f32_e32 v[12:13], v48
	v_cvt_f64_f32_e32 v[14:15], v19
	v_fma_f32 v44, v34, v45, -v35
	v_cvt_f64_f32_e32 v[16:17], v49
	v_cvt_f64_f32_e32 v[18:19], v20
	;; [unrolled: 1-line block ×12, first 2 shown]
	s_wait_alu 0xfffe
	v_mul_f64_e32 v[0:1], s[0:1], v[0:1]
	v_mad_co_u64_u32 v[41:42], null, s5, v43, v[41:42]
	v_add_co_u32 v42, vcc_lo, s8, v38
	v_add_co_ci_u32_e32 v43, vcc_lo, s9, v39, vcc_lo
	s_delay_alu instid0(VALU_DEP_3) | instskip(SKIP_1) | instid1(VALU_DEP_2)
	v_lshlrev_b64_e32 v[40:41], 3, v[40:41]
	v_mul_f64_e32 v[2:3], s[0:1], v[2:3]
	v_add_co_u32 v40, vcc_lo, v42, v40
	v_mul_f64_e32 v[4:5], s[0:1], v[4:5]
	v_mul_f64_e32 v[6:7], s[0:1], v[6:7]
	v_mul_f64_e32 v[8:9], s[0:1], v[8:9]
	v_mul_f64_e32 v[10:11], s[0:1], v[10:11]
	s_wait_alu 0xfffd
	v_add_co_ci_u32_e32 v41, vcc_lo, v43, v41, vcc_lo
	v_mul_f64_e32 v[12:13], s[0:1], v[12:13]
	v_mul_f64_e32 v[14:15], s[0:1], v[14:15]
	;; [unrolled: 1-line block ×14, first 2 shown]
	s_mul_u64 s[0:1], s[4:5], 0x258
	v_cvt_f32_f64_e32 v0, v[0:1]
	s_wait_alu 0xfffe
	v_add_co_u32 v42, vcc_lo, v40, s0
	s_wait_alu 0xfffd
	v_add_co_ci_u32_e32 v43, vcc_lo, s1, v41, vcc_lo
	s_delay_alu instid0(VALU_DEP_2) | instskip(SKIP_1) | instid1(VALU_DEP_2)
	v_add_co_u32 v44, vcc_lo, v42, s0
	s_wait_alu 0xfffd
	v_add_co_ci_u32_e32 v45, vcc_lo, s1, v43, vcc_lo
	s_delay_alu instid0(VALU_DEP_2) | instskip(SKIP_2) | instid1(VALU_DEP_3)
	v_add_co_u32 v46, vcc_lo, v44, s0
	v_cvt_f32_f64_e32 v1, v[2:3]
	s_wait_alu 0xfffd
	v_add_co_ci_u32_e32 v47, vcc_lo, s1, v45, vcc_lo
	v_cvt_f32_f64_e32 v2, v[4:5]
	v_cvt_f32_f64_e32 v3, v[6:7]
	v_cvt_f32_f64_e32 v4, v[8:9]
	v_cvt_f32_f64_e32 v5, v[10:11]
	v_cvt_f32_f64_e32 v6, v[12:13]
	v_cvt_f32_f64_e32 v7, v[14:15]
	v_cvt_f32_f64_e32 v8, v[16:17]
	v_cvt_f32_f64_e32 v9, v[18:19]
	v_cvt_f32_f64_e32 v10, v[20:21]
	v_cvt_f32_f64_e32 v11, v[22:23]
	v_cvt_f32_f64_e32 v12, v[24:25]
	v_cvt_f32_f64_e32 v13, v[26:27]
	v_cvt_f32_f64_e32 v14, v[28:29]
	v_cvt_f32_f64_e32 v15, v[30:31]
	v_cvt_f32_f64_e32 v16, v[32:33]
	v_cvt_f32_f64_e32 v17, v[34:35]
	v_cvt_f32_f64_e32 v18, v[36:37]
	v_cvt_f32_f64_e32 v19, v[38:39]
	v_add_co_u32 v20, vcc_lo, v46, s0
	s_wait_alu 0xfffd
	v_add_co_ci_u32_e32 v21, vcc_lo, s1, v47, vcc_lo
	s_delay_alu instid0(VALU_DEP_2) | instskip(SKIP_1) | instid1(VALU_DEP_2)
	v_add_co_u32 v22, vcc_lo, v20, s0
	s_wait_alu 0xfffd
	v_add_co_ci_u32_e32 v23, vcc_lo, s1, v21, vcc_lo
	s_delay_alu instid0(VALU_DEP_2) | instskip(SKIP_1) | instid1(VALU_DEP_2)
	v_add_co_u32 v24, vcc_lo, v22, s0
	s_wait_alu 0xfffd
	v_add_co_ci_u32_e32 v25, vcc_lo, s1, v23, vcc_lo
	s_delay_alu instid0(VALU_DEP_2) | instskip(SKIP_1) | instid1(VALU_DEP_2)
	v_add_co_u32 v26, vcc_lo, v24, s0
	s_wait_alu 0xfffd
	v_add_co_ci_u32_e32 v27, vcc_lo, s1, v25, vcc_lo
	s_delay_alu instid0(VALU_DEP_2) | instskip(SKIP_1) | instid1(VALU_DEP_2)
	v_add_co_u32 v28, vcc_lo, v26, s0
	s_wait_alu 0xfffd
	v_add_co_ci_u32_e32 v29, vcc_lo, s1, v27, vcc_lo
	s_delay_alu instid0(VALU_DEP_2) | instskip(SKIP_1) | instid1(VALU_DEP_2)
	v_add_co_u32 v30, vcc_lo, v28, s0
	s_wait_alu 0xfffd
	v_add_co_ci_u32_e32 v31, vcc_lo, s1, v29, vcc_lo
	s_clause 0x4
	global_store_b64 v[40:41], v[0:1], off
	global_store_b64 v[42:43], v[2:3], off
	;; [unrolled: 1-line block ×10, first 2 shown]
.LBB0_31:
	s_nop 0
	s_sendmsg sendmsg(MSG_DEALLOC_VGPRS)
	s_endpgm
	.section	.rodata,"a",@progbits
	.p2align	6, 0x0
	.amdhsa_kernel bluestein_single_fwd_len750_dim1_sp_op_CI_CI
		.amdhsa_group_segment_fixed_size 6000
		.amdhsa_private_segment_fixed_size 0
		.amdhsa_kernarg_size 104
		.amdhsa_user_sgpr_count 2
		.amdhsa_user_sgpr_dispatch_ptr 0
		.amdhsa_user_sgpr_queue_ptr 0
		.amdhsa_user_sgpr_kernarg_segment_ptr 1
		.amdhsa_user_sgpr_dispatch_id 0
		.amdhsa_user_sgpr_private_segment_size 0
		.amdhsa_wavefront_size32 1
		.amdhsa_uses_dynamic_stack 0
		.amdhsa_enable_private_segment 0
		.amdhsa_system_sgpr_workgroup_id_x 1
		.amdhsa_system_sgpr_workgroup_id_y 0
		.amdhsa_system_sgpr_workgroup_id_z 0
		.amdhsa_system_sgpr_workgroup_info 0
		.amdhsa_system_vgpr_workitem_id 0
		.amdhsa_next_free_vgpr 93
		.amdhsa_next_free_sgpr 16
		.amdhsa_reserve_vcc 1
		.amdhsa_float_round_mode_32 0
		.amdhsa_float_round_mode_16_64 0
		.amdhsa_float_denorm_mode_32 3
		.amdhsa_float_denorm_mode_16_64 3
		.amdhsa_fp16_overflow 0
		.amdhsa_workgroup_processor_mode 1
		.amdhsa_memory_ordered 1
		.amdhsa_forward_progress 0
		.amdhsa_round_robin_scheduling 0
		.amdhsa_exception_fp_ieee_invalid_op 0
		.amdhsa_exception_fp_denorm_src 0
		.amdhsa_exception_fp_ieee_div_zero 0
		.amdhsa_exception_fp_ieee_overflow 0
		.amdhsa_exception_fp_ieee_underflow 0
		.amdhsa_exception_fp_ieee_inexact 0
		.amdhsa_exception_int_div_zero 0
	.end_amdhsa_kernel
	.text
.Lfunc_end0:
	.size	bluestein_single_fwd_len750_dim1_sp_op_CI_CI, .Lfunc_end0-bluestein_single_fwd_len750_dim1_sp_op_CI_CI
                                        ; -- End function
	.section	.AMDGPU.csdata,"",@progbits
; Kernel info:
; codeLenInByte = 8464
; NumSgprs: 18
; NumVgprs: 93
; ScratchSize: 0
; MemoryBound: 0
; FloatMode: 240
; IeeeMode: 1
; LDSByteSize: 6000 bytes/workgroup (compile time only)
; SGPRBlocks: 2
; VGPRBlocks: 11
; NumSGPRsForWavesPerEU: 18
; NumVGPRsForWavesPerEU: 93
; Occupancy: 16
; WaveLimiterHint : 1
; COMPUTE_PGM_RSRC2:SCRATCH_EN: 0
; COMPUTE_PGM_RSRC2:USER_SGPR: 2
; COMPUTE_PGM_RSRC2:TRAP_HANDLER: 0
; COMPUTE_PGM_RSRC2:TGID_X_EN: 1
; COMPUTE_PGM_RSRC2:TGID_Y_EN: 0
; COMPUTE_PGM_RSRC2:TGID_Z_EN: 0
; COMPUTE_PGM_RSRC2:TIDIG_COMP_CNT: 0
	.text
	.p2alignl 7, 3214868480
	.fill 96, 4, 3214868480
	.type	__hip_cuid_edd78bb90b05147,@object ; @__hip_cuid_edd78bb90b05147
	.section	.bss,"aw",@nobits
	.globl	__hip_cuid_edd78bb90b05147
__hip_cuid_edd78bb90b05147:
	.byte	0                               ; 0x0
	.size	__hip_cuid_edd78bb90b05147, 1

	.ident	"AMD clang version 19.0.0git (https://github.com/RadeonOpenCompute/llvm-project roc-6.4.0 25133 c7fe45cf4b819c5991fe208aaa96edf142730f1d)"
	.section	".note.GNU-stack","",@progbits
	.addrsig
	.addrsig_sym __hip_cuid_edd78bb90b05147
	.amdgpu_metadata
---
amdhsa.kernels:
  - .args:
      - .actual_access:  read_only
        .address_space:  global
        .offset:         0
        .size:           8
        .value_kind:     global_buffer
      - .actual_access:  read_only
        .address_space:  global
        .offset:         8
        .size:           8
        .value_kind:     global_buffer
      - .actual_access:  read_only
        .address_space:  global
        .offset:         16
        .size:           8
        .value_kind:     global_buffer
      - .actual_access:  read_only
        .address_space:  global
        .offset:         24
        .size:           8
        .value_kind:     global_buffer
      - .actual_access:  read_only
        .address_space:  global
        .offset:         32
        .size:           8
        .value_kind:     global_buffer
      - .offset:         40
        .size:           8
        .value_kind:     by_value
      - .address_space:  global
        .offset:         48
        .size:           8
        .value_kind:     global_buffer
      - .address_space:  global
        .offset:         56
        .size:           8
        .value_kind:     global_buffer
      - .address_space:  global
        .offset:         64
        .size:           8
        .value_kind:     global_buffer
      - .address_space:  global
        .offset:         72
        .size:           8
        .value_kind:     global_buffer
      - .offset:         80
        .size:           4
        .value_kind:     by_value
      - .address_space:  global
        .offset:         88
        .size:           8
        .value_kind:     global_buffer
      - .address_space:  global
        .offset:         96
        .size:           8
        .value_kind:     global_buffer
    .group_segment_fixed_size: 6000
    .kernarg_segment_align: 8
    .kernarg_segment_size: 104
    .language:       OpenCL C
    .language_version:
      - 2
      - 0
    .max_flat_workgroup_size: 250
    .name:           bluestein_single_fwd_len750_dim1_sp_op_CI_CI
    .private_segment_fixed_size: 0
    .sgpr_count:     18
    .sgpr_spill_count: 0
    .symbol:         bluestein_single_fwd_len750_dim1_sp_op_CI_CI.kd
    .uniform_work_group_size: 1
    .uses_dynamic_stack: false
    .vgpr_count:     93
    .vgpr_spill_count: 0
    .wavefront_size: 32
    .workgroup_processor_mode: 1
amdhsa.target:   amdgcn-amd-amdhsa--gfx1201
amdhsa.version:
  - 1
  - 2
...

	.end_amdgpu_metadata
